;; amdgpu-corpus repo=zjin-lcf/HeCBench kind=compiled arch=gfx906 opt=O3
	.amdgcn_target "amdgcn-amd-amdhsa--gfx906"
	.amdhsa_code_object_version 6
	.text
	.protected	_Z11binary_scanPiPKi    ; -- Begin function _Z11binary_scanPiPKi
	.globl	_Z11binary_scanPiPKi
	.p2align	8
	.type	_Z11binary_scanPiPKi,@function
_Z11binary_scanPiPKi:                   ; @_Z11binary_scanPiPKi
; %bb.0:
	s_load_dwordx4 s[4:7], s[4:5], 0x0
	v_lshlrev_b32_e32 v1, 2, v0
	v_lshlrev_b64 v[2:3], v0, -1
	v_and_b32_e32 v4, 63, v0
	v_lshrrev_b32_e32 v6, 6, v0
	s_waitcnt lgkmcnt(0)
	global_load_dword v5, v1, s[6:7]
	v_cmp_eq_u32_e64 s[0:1], 63, v4
	s_waitcnt vmcnt(0)
	v_cmp_lt_i32_e32 vcc, 0, v5
	v_bfi_b32 v2, v2, 0, vcc_lo
	v_bfi_b32 v3, v3, 0, vcc_hi
	v_bcnt_u32_b32 v2, v2, 0
	v_bcnt_u32_b32 v2, v3, v2
	v_lshlrev_b32_e32 v3, 2, v6
	s_and_saveexec_b64 s[2:3], s[0:1]
; %bb.1:
	v_cndmask_b32_e64 v5, 0, 1, vcc
	v_add_u32_e32 v5, v2, v5
	ds_write_b32 v3, v5
; %bb.2:
	s_or_b64 exec, exec, s[2:3]
	v_cmp_gt_u32_e32 vcc, 64, v0
	s_waitcnt lgkmcnt(0)
	s_barrier
	s_and_saveexec_b64 s[0:1], vcc
	s_cbranch_execz .LBB0_4
; %bb.3:
	ds_read_b32 v8, v1
	v_lshlrev_b32_e32 v0, 1, v0
	v_sub_u32_e32 v0, v0, v4
	s_mov_b64 s[2:3], src_shared_base
	v_lshlrev_b32_e32 v4, 2, v0
	v_mov_b32_e32 v5, s3
	v_mov_b32_e32 v0, 0
	v_add_u32_e32 v6, 0x100, v4
	v_mov_b32_e32 v7, s3
	flat_store_dword v[4:5], v0
	s_waitcnt vmcnt(0) lgkmcnt(0)
	flat_store_dword v[6:7], v8
	s_waitcnt vmcnt(0)
	v_add_u32_e32 v8, 0xfc, v4
	v_mov_b32_e32 v9, s3
	flat_load_dword v0, v[6:7] glc
	s_waitcnt vmcnt(0)
	flat_load_dword v12, v[8:9] glc
	s_waitcnt vmcnt(0)
	v_mov_b32_e32 v11, s3
	v_add_u32_e32 v10, 0xf8, v4
	s_waitcnt lgkmcnt(0)
	v_add_u32_e32 v0, v12, v0
	flat_store_dword v[6:7], v0
	s_waitcnt vmcnt(0)
	flat_load_dword v12, v[10:11] glc
	s_waitcnt vmcnt(0)
	v_add_u32_e32 v10, 0xf0, v4
	v_add_u32_e32 v4, 0xe0, v4
	s_waitcnt lgkmcnt(0)
	v_add_u32_e32 v0, v12, v0
	flat_store_dword v[6:7], v0
	s_waitcnt vmcnt(0)
	flat_load_dword v10, v[10:11] glc
	s_waitcnt vmcnt(0) lgkmcnt(0)
	v_add_u32_e32 v0, v10, v0
	flat_store_dword v[6:7], v0
	s_waitcnt vmcnt(0)
	flat_load_dword v4, v[4:5] glc
	s_waitcnt vmcnt(0) lgkmcnt(0)
	;; [unrolled: 5-line block ×3, first 2 shown]
	ds_write_b32 v1, v0
.LBB0_4:
	s_or_b64 exec, exec, s[0:1]
	s_waitcnt lgkmcnt(0)
	s_barrier
	ds_read_b32 v0, v3
	s_waitcnt lgkmcnt(0)
	v_add_u32_e32 v0, v0, v2
	global_store_dword v1, v0, s[4:5]
	s_endpgm
	.section	.rodata,"a",@progbits
	.p2align	6, 0x0
	.amdhsa_kernel _Z11binary_scanPiPKi
		.amdhsa_group_segment_fixed_size 320
		.amdhsa_private_segment_fixed_size 0
		.amdhsa_kernarg_size 16
		.amdhsa_user_sgpr_count 6
		.amdhsa_user_sgpr_private_segment_buffer 1
		.amdhsa_user_sgpr_dispatch_ptr 0
		.amdhsa_user_sgpr_queue_ptr 0
		.amdhsa_user_sgpr_kernarg_segment_ptr 1
		.amdhsa_user_sgpr_dispatch_id 0
		.amdhsa_user_sgpr_flat_scratch_init 0
		.amdhsa_user_sgpr_private_segment_size 0
		.amdhsa_uses_dynamic_stack 0
		.amdhsa_system_sgpr_private_segment_wavefront_offset 0
		.amdhsa_system_sgpr_workgroup_id_x 1
		.amdhsa_system_sgpr_workgroup_id_y 0
		.amdhsa_system_sgpr_workgroup_id_z 0
		.amdhsa_system_sgpr_workgroup_info 0
		.amdhsa_system_vgpr_workitem_id 0
		.amdhsa_next_free_vgpr 13
		.amdhsa_next_free_sgpr 8
		.amdhsa_reserve_vcc 1
		.amdhsa_reserve_flat_scratch 0
		.amdhsa_float_round_mode_32 0
		.amdhsa_float_round_mode_16_64 0
		.amdhsa_float_denorm_mode_32 3
		.amdhsa_float_denorm_mode_16_64 3
		.amdhsa_dx10_clamp 1
		.amdhsa_ieee_mode 1
		.amdhsa_fp16_overflow 0
		.amdhsa_exception_fp_ieee_invalid_op 0
		.amdhsa_exception_fp_denorm_src 0
		.amdhsa_exception_fp_ieee_div_zero 0
		.amdhsa_exception_fp_ieee_overflow 0
		.amdhsa_exception_fp_ieee_underflow 0
		.amdhsa_exception_fp_ieee_inexact 0
		.amdhsa_exception_int_div_zero 0
	.end_amdhsa_kernel
	.text
.Lfunc_end0:
	.size	_Z11binary_scanPiPKi, .Lfunc_end0-_Z11binary_scanPiPKi
                                        ; -- End function
	.set _Z11binary_scanPiPKi.num_vgpr, 13
	.set _Z11binary_scanPiPKi.num_agpr, 0
	.set _Z11binary_scanPiPKi.numbered_sgpr, 8
	.set _Z11binary_scanPiPKi.num_named_barrier, 0
	.set _Z11binary_scanPiPKi.private_seg_size, 0
	.set _Z11binary_scanPiPKi.uses_vcc, 1
	.set _Z11binary_scanPiPKi.uses_flat_scratch, 0
	.set _Z11binary_scanPiPKi.has_dyn_sized_stack, 0
	.set _Z11binary_scanPiPKi.has_recursion, 0
	.set _Z11binary_scanPiPKi.has_indirect_call, 0
	.section	.AMDGPU.csdata,"",@progbits
; Kernel info:
; codeLenInByte = 440
; TotalNumSgprs: 12
; NumVgprs: 13
; ScratchSize: 0
; MemoryBound: 0
; FloatMode: 240
; IeeeMode: 1
; LDSByteSize: 320 bytes/workgroup (compile time only)
; SGPRBlocks: 1
; VGPRBlocks: 3
; NumSGPRsForWavesPerEU: 12
; NumVGPRsForWavesPerEU: 13
; Occupancy: 10
; WaveLimiterHint : 0
; COMPUTE_PGM_RSRC2:SCRATCH_EN: 0
; COMPUTE_PGM_RSRC2:USER_SGPR: 6
; COMPUTE_PGM_RSRC2:TRAP_HANDLER: 0
; COMPUTE_PGM_RSRC2:TGID_X_EN: 1
; COMPUTE_PGM_RSRC2:TGID_Y_EN: 0
; COMPUTE_PGM_RSRC2:TGID_Z_EN: 0
; COMPUTE_PGM_RSRC2:TIDIG_COMP_CNT: 0
	.section	.AMDGPU.gpr_maximums,"",@progbits
	.set amdgpu.max_num_vgpr, 0
	.set amdgpu.max_num_agpr, 0
	.set amdgpu.max_num_sgpr, 0
	.section	.AMDGPU.csdata,"",@progbits
	.type	__hip_cuid_45afb5554199fbf5,@object ; @__hip_cuid_45afb5554199fbf5
	.section	.bss,"aw",@nobits
	.globl	__hip_cuid_45afb5554199fbf5
__hip_cuid_45afb5554199fbf5:
	.byte	0                               ; 0x0
	.size	__hip_cuid_45afb5554199fbf5, 1

	.ident	"AMD clang version 22.0.0git (https://github.com/RadeonOpenCompute/llvm-project roc-7.2.4 26084 f58b06dce1f9c15707c5f808fd002e18c2accf7e)"
	.section	".note.GNU-stack","",@progbits
	.addrsig
	.addrsig_sym __hip_cuid_45afb5554199fbf5
	.amdgpu_metadata
---
amdhsa.kernels:
  - .args:
      - .actual_access:  write_only
        .address_space:  global
        .offset:         0
        .size:           8
        .value_kind:     global_buffer
      - .actual_access:  read_only
        .address_space:  global
        .offset:         8
        .size:           8
        .value_kind:     global_buffer
    .group_segment_fixed_size: 320
    .kernarg_segment_align: 8
    .kernarg_segment_size: 16
    .language:       OpenCL C
    .language_version:
      - 2
      - 0
    .max_flat_workgroup_size: 1024
    .name:           _Z11binary_scanPiPKi
    .private_segment_fixed_size: 0
    .sgpr_count:     12
    .sgpr_spill_count: 0
    .symbol:         _Z11binary_scanPiPKi.kd
    .uniform_work_group_size: 1
    .uses_dynamic_stack: false
    .vgpr_count:     13
    .vgpr_spill_count: 0
    .wavefront_size: 64
amdhsa.target:   amdgcn-amd-amdhsa--gfx906
amdhsa.version:
  - 1
  - 2
...

	.end_amdgpu_metadata
